;; amdgpu-corpus repo=ROCm/rocFFT kind=compiled arch=gfx906 opt=O3
	.text
	.amdgcn_target "amdgcn-amd-amdhsa--gfx906"
	.amdhsa_code_object_version 6
	.protected	fft_rtc_back_len640_factors_8_10_8_wgs_128_tpt_64_halfLds_sp_op_CI_CI_unitstride_sbrr_dirReg ; -- Begin function fft_rtc_back_len640_factors_8_10_8_wgs_128_tpt_64_halfLds_sp_op_CI_CI_unitstride_sbrr_dirReg
	.globl	fft_rtc_back_len640_factors_8_10_8_wgs_128_tpt_64_halfLds_sp_op_CI_CI_unitstride_sbrr_dirReg
	.p2align	8
	.type	fft_rtc_back_len640_factors_8_10_8_wgs_128_tpt_64_halfLds_sp_op_CI_CI_unitstride_sbrr_dirReg,@function
fft_rtc_back_len640_factors_8_10_8_wgs_128_tpt_64_halfLds_sp_op_CI_CI_unitstride_sbrr_dirReg: ; @fft_rtc_back_len640_factors_8_10_8_wgs_128_tpt_64_halfLds_sp_op_CI_CI_unitstride_sbrr_dirReg
; %bb.0:
	s_load_dwordx4 s[12:15], s[4:5], 0x58
	s_load_dwordx4 s[8:11], s[4:5], 0x0
	;; [unrolled: 1-line block ×3, first 2 shown]
	v_lshrrev_b32_e32 v1, 6, v0
	v_lshl_or_b32 v5, s6, 1, v1
	v_mov_b32_e32 v3, 0
	s_waitcnt lgkmcnt(0)
	v_cmp_lt_u64_e64 s[0:1], s[10:11], 2
	v_mov_b32_e32 v1, 0
	v_mov_b32_e32 v6, v3
	s_and_b64 vcc, exec, s[0:1]
	v_mov_b32_e32 v2, 0
	s_cbranch_vccnz .LBB0_8
; %bb.1:
	s_load_dwordx2 s[0:1], s[4:5], 0x10
	s_add_u32 s2, s18, 8
	s_addc_u32 s3, s19, 0
	s_add_u32 s6, s16, 8
	v_mov_b32_e32 v1, 0
	s_addc_u32 s7, s17, 0
	v_mov_b32_e32 v2, 0
	s_waitcnt lgkmcnt(0)
	s_add_u32 s20, s0, 8
	v_mov_b32_e32 v16, v2
	s_addc_u32 s21, s1, 0
	s_mov_b64 s[22:23], 1
	v_mov_b32_e32 v15, v1
.LBB0_2:                                ; =>This Inner Loop Header: Depth=1
	s_load_dwordx2 s[24:25], s[20:21], 0x0
                                        ; implicit-def: $vgpr17_vgpr18
	s_waitcnt lgkmcnt(0)
	v_or_b32_e32 v4, s25, v6
	v_cmp_ne_u64_e32 vcc, 0, v[3:4]
	s_and_saveexec_b64 s[0:1], vcc
	s_xor_b64 s[26:27], exec, s[0:1]
	s_cbranch_execz .LBB0_4
; %bb.3:                                ;   in Loop: Header=BB0_2 Depth=1
	v_cvt_f32_u32_e32 v4, s24
	v_cvt_f32_u32_e32 v7, s25
	s_sub_u32 s0, 0, s24
	s_subb_u32 s1, 0, s25
	v_mac_f32_e32 v4, 0x4f800000, v7
	v_rcp_f32_e32 v4, v4
	v_mul_f32_e32 v4, 0x5f7ffffc, v4
	v_mul_f32_e32 v7, 0x2f800000, v4
	v_trunc_f32_e32 v7, v7
	v_mac_f32_e32 v4, 0xcf800000, v7
	v_cvt_u32_f32_e32 v7, v7
	v_cvt_u32_f32_e32 v4, v4
	v_mul_lo_u32 v8, s0, v7
	v_mul_hi_u32 v9, s0, v4
	v_mul_lo_u32 v11, s1, v4
	v_mul_lo_u32 v10, s0, v4
	v_add_u32_e32 v8, v9, v8
	v_add_u32_e32 v8, v8, v11
	v_mul_hi_u32 v9, v4, v10
	v_mul_lo_u32 v11, v4, v8
	v_mul_hi_u32 v13, v4, v8
	v_mul_hi_u32 v12, v7, v10
	v_mul_lo_u32 v10, v7, v10
	v_mul_hi_u32 v14, v7, v8
	v_add_co_u32_e32 v9, vcc, v9, v11
	v_addc_co_u32_e32 v11, vcc, 0, v13, vcc
	v_mul_lo_u32 v8, v7, v8
	v_add_co_u32_e32 v9, vcc, v9, v10
	v_addc_co_u32_e32 v9, vcc, v11, v12, vcc
	v_addc_co_u32_e32 v10, vcc, 0, v14, vcc
	v_add_co_u32_e32 v8, vcc, v9, v8
	v_addc_co_u32_e32 v9, vcc, 0, v10, vcc
	v_add_co_u32_e32 v4, vcc, v4, v8
	v_addc_co_u32_e32 v7, vcc, v7, v9, vcc
	v_mul_lo_u32 v8, s0, v7
	v_mul_hi_u32 v9, s0, v4
	v_mul_lo_u32 v10, s1, v4
	v_mul_lo_u32 v11, s0, v4
	v_add_u32_e32 v8, v9, v8
	v_add_u32_e32 v8, v8, v10
	v_mul_lo_u32 v12, v4, v8
	v_mul_hi_u32 v13, v4, v11
	v_mul_hi_u32 v14, v4, v8
	v_mul_hi_u32 v10, v7, v11
	v_mul_lo_u32 v11, v7, v11
	v_mul_hi_u32 v9, v7, v8
	v_add_co_u32_e32 v12, vcc, v13, v12
	v_addc_co_u32_e32 v13, vcc, 0, v14, vcc
	v_mul_lo_u32 v8, v7, v8
	v_add_co_u32_e32 v11, vcc, v12, v11
	v_addc_co_u32_e32 v10, vcc, v13, v10, vcc
	v_addc_co_u32_e32 v9, vcc, 0, v9, vcc
	v_add_co_u32_e32 v8, vcc, v10, v8
	v_addc_co_u32_e32 v9, vcc, 0, v9, vcc
	v_add_co_u32_e32 v4, vcc, v4, v8
	v_addc_co_u32_e32 v9, vcc, v7, v9, vcc
	v_mad_u64_u32 v[7:8], s[0:1], v5, v9, 0
	v_mul_hi_u32 v10, v5, v4
	v_add_co_u32_e32 v11, vcc, v10, v7
	v_addc_co_u32_e32 v12, vcc, 0, v8, vcc
	v_mad_u64_u32 v[7:8], s[0:1], v6, v4, 0
	v_mad_u64_u32 v[9:10], s[0:1], v6, v9, 0
	v_add_co_u32_e32 v4, vcc, v11, v7
	v_addc_co_u32_e32 v4, vcc, v12, v8, vcc
	v_addc_co_u32_e32 v7, vcc, 0, v10, vcc
	v_add_co_u32_e32 v4, vcc, v4, v9
	v_addc_co_u32_e32 v9, vcc, 0, v7, vcc
	v_mul_lo_u32 v10, s25, v4
	v_mul_lo_u32 v11, s24, v9
	v_mad_u64_u32 v[7:8], s[0:1], s24, v4, 0
	v_add3_u32 v8, v8, v11, v10
	v_sub_u32_e32 v10, v6, v8
	v_mov_b32_e32 v11, s25
	v_sub_co_u32_e32 v7, vcc, v5, v7
	v_subb_co_u32_e64 v10, s[0:1], v10, v11, vcc
	v_subrev_co_u32_e64 v11, s[0:1], s24, v7
	v_subbrev_co_u32_e64 v10, s[0:1], 0, v10, s[0:1]
	v_cmp_le_u32_e64 s[0:1], s25, v10
	v_cndmask_b32_e64 v12, 0, -1, s[0:1]
	v_cmp_le_u32_e64 s[0:1], s24, v11
	v_cndmask_b32_e64 v11, 0, -1, s[0:1]
	v_cmp_eq_u32_e64 s[0:1], s25, v10
	v_cndmask_b32_e64 v10, v12, v11, s[0:1]
	v_add_co_u32_e64 v11, s[0:1], 2, v4
	v_addc_co_u32_e64 v12, s[0:1], 0, v9, s[0:1]
	v_add_co_u32_e64 v13, s[0:1], 1, v4
	v_addc_co_u32_e64 v14, s[0:1], 0, v9, s[0:1]
	v_subb_co_u32_e32 v8, vcc, v6, v8, vcc
	v_cmp_ne_u32_e64 s[0:1], 0, v10
	v_cmp_le_u32_e32 vcc, s25, v8
	v_cndmask_b32_e64 v10, v14, v12, s[0:1]
	v_cndmask_b32_e64 v12, 0, -1, vcc
	v_cmp_le_u32_e32 vcc, s24, v7
	v_cndmask_b32_e64 v7, 0, -1, vcc
	v_cmp_eq_u32_e32 vcc, s25, v8
	v_cndmask_b32_e32 v7, v12, v7, vcc
	v_cmp_ne_u32_e32 vcc, 0, v7
	v_cndmask_b32_e64 v7, v13, v11, s[0:1]
	v_cndmask_b32_e32 v18, v9, v10, vcc
	v_cndmask_b32_e32 v17, v4, v7, vcc
.LBB0_4:                                ;   in Loop: Header=BB0_2 Depth=1
	s_andn2_saveexec_b64 s[0:1], s[26:27]
	s_cbranch_execz .LBB0_6
; %bb.5:                                ;   in Loop: Header=BB0_2 Depth=1
	v_cvt_f32_u32_e32 v4, s24
	s_sub_i32 s26, 0, s24
	v_mov_b32_e32 v18, v3
	v_rcp_iflag_f32_e32 v4, v4
	v_mul_f32_e32 v4, 0x4f7ffffe, v4
	v_cvt_u32_f32_e32 v4, v4
	v_mul_lo_u32 v7, s26, v4
	v_mul_hi_u32 v7, v4, v7
	v_add_u32_e32 v4, v4, v7
	v_mul_hi_u32 v4, v5, v4
	v_mul_lo_u32 v7, v4, s24
	v_add_u32_e32 v8, 1, v4
	v_sub_u32_e32 v7, v5, v7
	v_subrev_u32_e32 v9, s24, v7
	v_cmp_le_u32_e32 vcc, s24, v7
	v_cndmask_b32_e32 v7, v7, v9, vcc
	v_cndmask_b32_e32 v4, v4, v8, vcc
	v_add_u32_e32 v8, 1, v4
	v_cmp_le_u32_e32 vcc, s24, v7
	v_cndmask_b32_e32 v17, v4, v8, vcc
.LBB0_6:                                ;   in Loop: Header=BB0_2 Depth=1
	s_or_b64 exec, exec, s[0:1]
	v_mul_lo_u32 v4, v18, s24
	v_mul_lo_u32 v9, v17, s25
	v_mad_u64_u32 v[7:8], s[0:1], v17, s24, 0
	s_load_dwordx2 s[0:1], s[6:7], 0x0
	s_load_dwordx2 s[24:25], s[2:3], 0x0
	v_add3_u32 v4, v8, v9, v4
	v_sub_co_u32_e32 v5, vcc, v5, v7
	v_subb_co_u32_e32 v4, vcc, v6, v4, vcc
	s_waitcnt lgkmcnt(0)
	v_mul_lo_u32 v6, s0, v4
	v_mul_lo_u32 v7, s1, v5
	v_mad_u64_u32 v[1:2], s[0:1], s0, v5, v[1:2]
	v_mul_lo_u32 v4, s24, v4
	v_mul_lo_u32 v8, s25, v5
	v_mad_u64_u32 v[15:16], s[0:1], s24, v5, v[15:16]
	s_add_u32 s22, s22, 1
	s_addc_u32 s23, s23, 0
	s_add_u32 s2, s2, 8
	v_add3_u32 v16, v8, v16, v4
	s_addc_u32 s3, s3, 0
	v_mov_b32_e32 v4, s10
	s_add_u32 s6, s6, 8
	v_mov_b32_e32 v5, s11
	s_addc_u32 s7, s7, 0
	v_cmp_ge_u64_e32 vcc, s[22:23], v[4:5]
	s_add_u32 s20, s20, 8
	v_add3_u32 v2, v7, v2, v6
	s_addc_u32 s21, s21, 0
	s_cbranch_vccnz .LBB0_9
; %bb.7:                                ;   in Loop: Header=BB0_2 Depth=1
	v_mov_b32_e32 v5, v17
	v_mov_b32_e32 v6, v18
	s_branch .LBB0_2
.LBB0_8:
	v_mov_b32_e32 v16, v2
	v_mov_b32_e32 v18, v6
	;; [unrolled: 1-line block ×4, first 2 shown]
.LBB0_9:
	s_load_dwordx2 s[4:5], s[4:5], 0x28
	s_lshl_b64 s[6:7], s[10:11], 3
	s_add_u32 s2, s18, s6
	s_addc_u32 s3, s19, s7
	v_and_b32_e32 v41, 63, v0
	s_waitcnt lgkmcnt(0)
	v_cmp_gt_u64_e64 s[0:1], s[4:5], v[17:18]
	v_cmp_le_u64_e32 vcc, s[4:5], v[17:18]
                                        ; implicit-def: $sgpr10
                                        ; implicit-def: $vgpr42
	s_and_saveexec_b64 s[4:5], vcc
	s_xor_b64 s[4:5], exec, s[4:5]
; %bb.10:
	v_and_b32_e32 v41, 63, v0
	v_or_b32_e32 v42, 64, v41
	s_mov_b32 s10, 0
                                        ; implicit-def: $vgpr1_vgpr2
; %bb.11:
	s_or_saveexec_b64 s[4:5], s[4:5]
	s_load_dwordx2 s[2:3], s[2:3], 0x0
	v_mov_b32_e32 v7, s10
	v_mov_b32_e32 v6, s10
	;; [unrolled: 1-line block ×8, first 2 shown]
                                        ; implicit-def: $vgpr9
                                        ; implicit-def: $vgpr34
                                        ; implicit-def: $vgpr12
                                        ; implicit-def: $vgpr36
                                        ; implicit-def: $vgpr5
                                        ; implicit-def: $vgpr3
                                        ; implicit-def: $vgpr28
                                        ; implicit-def: $vgpr20
                                        ; implicit-def: $vgpr26
                                        ; implicit-def: $vgpr32
                                        ; implicit-def: $vgpr30
                                        ; implicit-def: $vgpr38
	s_xor_b64 exec, exec, s[4:5]
	s_cbranch_execz .LBB0_15
; %bb.12:
	s_add_u32 s6, s16, s6
	s_addc_u32 s7, s17, s7
	s_load_dwordx2 s[6:7], s[6:7], 0x0
	v_mov_b32_e32 v7, s13
	v_lshlrev_b64 v[1:2], 3, v[1:2]
	v_or_b32_e32 v42, 64, v41
	v_mov_b32_e32 v23, 0
	s_waitcnt lgkmcnt(0)
	v_mul_lo_u32 v5, s7, v17
	v_mul_lo_u32 v6, s6, v18
	v_mad_u64_u32 v[3:4], s[6:7], s6, v17, 0
	s_movk_i32 s6, 0x50
	v_mov_b32_e32 v24, 0
	v_add3_u32 v4, v4, v6, v5
	v_lshlrev_b64 v[3:4], 3, v[3:4]
	v_mov_b32_e32 v13, 0
	v_add_co_u32_e32 v3, vcc, s12, v3
	v_addc_co_u32_e32 v4, vcc, v7, v4, vcc
	v_add_co_u32_e32 v1, vcc, v3, v1
	v_addc_co_u32_e32 v2, vcc, v4, v2, vcc
	v_lshlrev_b32_e32 v3, 3, v41
	v_add_co_u32_e32 v39, vcc, v1, v3
	v_addc_co_u32_e32 v40, vcc, 0, v2, vcc
	v_add_co_u32_e32 v6, vcc, 0x1000, v39
	v_addc_co_u32_e32 v7, vcc, 0, v40, vcc
	global_load_dwordx2 v[4:5], v[39:40], off offset:2560
	global_load_dwordx2 v[2:3], v[39:40], off offset:3200
	;; [unrolled: 1-line block ×4, first 2 shown]
	global_load_dwordx2 v[8:9], v[39:40], off
	global_load_dwordx2 v[33:34], v[39:40], off offset:640
	global_load_dwordx2 v[11:12], v[39:40], off offset:1280
	;; [unrolled: 1-line block ×3, first 2 shown]
	v_cmp_gt_u32_e32 vcc, s6, v42
	v_mov_b32_e32 v14, 0
	v_mov_b32_e32 v21, 0
	v_mov_b32_e32 v22, 0
	v_mov_b32_e32 v6, 0
	v_mov_b32_e32 v7, 0
                                        ; implicit-def: $vgpr29
                                        ; implicit-def: $vgpr31
                                        ; implicit-def: $vgpr25
                                        ; implicit-def: $vgpr19
	s_and_saveexec_b64 s[6:7], vcc
	s_cbranch_execz .LBB0_14
; %bb.13:
	v_add_co_u32_e32 v43, vcc, 0x1000, v39
	global_load_dwordx2 v[6:7], v[39:40], off offset:512
	global_load_dwordx2 v[21:22], v[39:40], off offset:1152
	;; [unrolled: 1-line block ×4, first 2 shown]
	v_addc_co_u32_e32 v44, vcc, 0, v40, vcc
	global_load_dwordx2 v[19:20], v[39:40], off offset:3072
	global_load_dwordx2 v[25:26], v[39:40], off offset:3712
	;; [unrolled: 1-line block ×4, first 2 shown]
.LBB0_14:
	s_or_b64 exec, exec, s[6:7]
.LBB0_15:
	s_or_b64 exec, exec, s[4:5]
	v_and_b32_e32 v1, 64, v0
	v_cmp_ne_u32_e32 vcc, 0, v1
	s_waitcnt vmcnt(3)
	v_sub_f32_e32 v1, v8, v4
	v_mov_b32_e32 v10, 0x280
	v_fma_f32 v4, v8, 2.0, -v1
	s_waitcnt vmcnt(1)
	v_sub_f32_e32 v8, v11, v27
	v_sub_f32_e32 v27, v12, v28
	;; [unrolled: 1-line block ×4, first 2 shown]
	s_waitcnt vmcnt(0)
	v_sub_f32_e32 v37, v35, v37
	v_sub_f32_e32 v38, v36, v38
	v_cndmask_b32_e32 v40, 0, v10, vcc
	v_fma_f32 v10, v11, 2.0, -v8
	v_fma_f32 v11, v33, 2.0, -v2
	;; [unrolled: 1-line block ×5, first 2 shown]
	v_add_f32_e32 v36, v1, v27
	v_sub_f32_e32 v35, v4, v10
	v_fma_f32 v10, v1, 2.0, -v36
	v_sub_f32_e32 v33, v11, v33
	v_add_f32_e32 v43, v2, v38
	v_fma_f32 v1, v11, 2.0, -v33
	v_sub_f32_e32 v44, v3, v37
	v_fma_f32 v45, v2, 2.0, -v43
	v_mov_b32_e32 v2, v10
	v_mov_b32_e32 v11, v36
	v_fma_f32 v4, v4, 2.0, -v35
	v_fma_f32 v46, v3, 2.0, -v44
	v_fmac_f32_e32 v2, 0xbf3504f3, v45
	v_fmac_f32_e32 v11, 0x3f3504f3, v43
	v_sub_f32_e32 v34, v28, v34
	v_sub_f32_e32 v1, v4, v1
	v_fmac_f32_e32 v2, 0x3f3504f3, v46
	v_fmac_f32_e32 v11, 0x3f3504f3, v44
	v_fma_f32 v3, v4, 2.0, -v1
	v_fma_f32 v4, v10, 2.0, -v2
	v_add_f32_e32 v10, v35, v34
	v_fma_f32 v38, v36, 2.0, -v11
	v_lshl_add_u32 v36, v41, 5, 0
	v_fma_f32 v37, v35, 2.0, -v10
	v_lshl_add_u32 v35, v40, 2, v36
	ds_write2_b64 v35, v[3:4], v[37:38] offset1:1
	v_sub_f32_e32 v3, v6, v19
	v_fma_f32 v4, v6, 2.0, -v3
	v_sub_f32_e32 v6, v13, v31
	v_sub_f32_e32 v25, v21, v25
	;; [unrolled: 1-line block ×4, first 2 shown]
	v_fma_f32 v31, v13, 2.0, -v6
	v_sub_f32_e32 v26, v22, v26
	v_fma_f32 v32, v21, 2.0, -v25
	v_sub_f32_e32 v30, v24, v30
	v_fma_f32 v21, v23, 2.0, -v29
	v_fma_f32 v13, v22, 2.0, -v26
	;; [unrolled: 1-line block ×3, first 2 shown]
	v_sub_f32_e32 v23, v4, v31
	v_add_f32_e32 v24, v3, v19
	v_sub_f32_e32 v21, v32, v21
	v_fma_f32 v38, v4, 2.0, -v23
	v_fma_f32 v39, v3, 2.0, -v24
	v_sub_f32_e32 v22, v13, v22
	v_fma_f32 v3, v32, 2.0, -v21
	v_add_f32_e32 v37, v25, v30
	ds_write2_b64 v35, v[1:2], v[10:11] offset0:2 offset1:3
	v_sub_f32_e32 v1, v38, v3
	v_add_f32_e32 v3, v23, v22
	v_mov_b32_e32 v4, v24
	v_sub_f32_e32 v47, v26, v29
	v_fmac_f32_e32 v4, 0x3f3504f3, v37
	v_fma_f32 v10, v23, 2.0, -v3
	v_fma_f32 v23, v25, 2.0, -v37
	v_mov_b32_e32 v2, v39
	v_fmac_f32_e32 v4, 0x3f3504f3, v47
	v_fma_f32 v25, v26, 2.0, -v47
	v_fmac_f32_e32 v2, 0xbf3504f3, v23
	v_fma_f32 v11, v24, 2.0, -v4
	v_mul_f32_e32 v31, 0x3f3504f3, v45
	v_mul_f32_e32 v32, 0x3f3504f3, v46
	v_mul_f32_e32 v29, 0x3f3504f3, v43
	v_mul_f32_e32 v30, 0x3f3504f3, v44
	v_mul_f32_e32 v24, 0x3f3504f3, v23
	v_fmac_f32_e32 v2, 0x3f3504f3, v25
	v_mul_f32_e32 v26, 0x3f3504f3, v25
	v_mul_f32_e32 v23, 0x3f3504f3, v37
	;; [unrolled: 1-line block ×3, first 2 shown]
	v_cmp_gt_u32_e32 vcc, 16, v41
	v_lshlrev_b32_e32 v37, 2, v40
	s_and_saveexec_b64 s[4:5], vcc
	s_cbranch_execz .LBB0_17
; %bb.16:
	v_lshlrev_b32_e32 v40, 5, v42
	v_fma_f32 v39, v39, 2.0, -v2
	v_fma_f32 v38, v38, 2.0, -v1
	v_add3_u32 v40, 0, v40, v37
	ds_write2_b64 v40, v[38:39], v[10:11] offset1:1
	ds_write2_b64 v40, v[1:2], v[3:4] offset0:2 offset1:3
.LBB0_17:
	s_or_b64 exec, exec, s[4:5]
	v_sub_f32_e32 v5, v9, v5
	v_fma_f32 v9, v9, 2.0, -v5
	v_fma_f32 v12, v12, 2.0, -v27
	v_sub_f32_e32 v12, v9, v12
	v_fma_f32 v9, v9, 2.0, -v12
	v_sub_f32_e32 v8, v5, v8
	v_fma_f32 v27, v28, 2.0, -v34
	v_fma_f32 v5, v5, 2.0, -v8
	v_sub_f32_e32 v38, v9, v27
	v_fma_f32 v43, v9, 2.0, -v38
	v_sub_f32_e32 v9, v5, v32
	v_sub_f32_e32 v39, v9, v31
	v_fma_f32 v44, v5, 2.0, -v39
	v_add_f32_e32 v5, v8, v30
	v_sub_f32_e32 v46, v5, v29
	v_sub_f32_e32 v5, v7, v20
	v_fma_f32 v48, v8, 2.0, -v46
	v_fma_f32 v7, v7, 2.0, -v5
	;; [unrolled: 1-line block ×3, first 2 shown]
	v_sub_f32_e32 v45, v12, v33
	v_sub_f32_e32 v8, v7, v8
	v_fma_f32 v47, v12, 2.0, -v45
	v_fma_f32 v12, v7, 2.0, -v8
	v_sub_f32_e32 v9, v5, v6
	v_sub_f32_e32 v7, v8, v21
	v_fma_f32 v27, v5, 2.0, -v9
	v_fma_f32 v5, v13, 2.0, -v22
	;; [unrolled: 1-line block ×3, first 2 shown]
	v_add_f32_e32 v8, v9, v25
	v_sub_f32_e32 v8, v8, v23
	v_fma_f32 v14, v9, 2.0, -v8
	v_lshlrev_b32_e32 v9, 2, v41
	v_mul_i32_i24_e32 v19, 0xffffffe4, v41
	v_sub_f32_e32 v6, v27, v26
	v_add3_u32 v33, 0, v37, v9
	v_lshl_add_u32 v28, v42, 2, 0
	v_add3_u32 v32, v36, v19, v37
	v_sub_f32_e32 v6, v6, v24
	s_waitcnt lgkmcnt(0)
	s_barrier
	v_add_u32_e32 v31, v28, v37
	ds_read_b32 v29, v33
	ds_read_b32 v9, v31
	ds_read2st64_b32 v[25:26], v32 offset0:2 offset1:3
	ds_read2st64_b32 v[23:24], v32 offset0:4 offset1:5
	;; [unrolled: 1-line block ×4, first 2 shown]
	v_sub_f32_e32 v5, v12, v5
	s_waitcnt lgkmcnt(0)
	s_barrier
	ds_write2_b64 v35, v[43:44], v[47:48] offset1:1
	ds_write2_b64 v35, v[38:39], v[45:46] offset0:2 offset1:3
	s_and_saveexec_b64 s[4:5], vcc
	s_cbranch_execz .LBB0_19
; %bb.18:
	v_fma_f32 v34, v12, 2.0, -v5
	v_mul_i32_i24_e32 v12, 28, v42
	v_fma_f32 v35, v27, 2.0, -v6
	v_add3_u32 v12, v28, v12, v37
	ds_write2_b64 v12, v[34:35], v[13:14] offset1:1
	ds_write2_b64 v12, v[5:6], v[7:8] offset0:2 offset1:3
.LBB0_19:
	s_or_b64 exec, exec, s[4:5]
	v_and_b32_e32 v40, 7, v0
	v_mul_u32_u24_e32 v0, 9, v40
	v_lshlrev_b32_e32 v57, 3, v0
	s_waitcnt lgkmcnt(0)
	s_barrier
	global_load_dwordx4 v[43:46], v57, s[8:9]
	global_load_dwordx4 v[47:50], v57, s[8:9] offset:16
	global_load_dwordx4 v[51:54], v57, s[8:9] offset:32
	ds_read_b32 v12, v31
	ds_read2st64_b32 v[34:35], v32 offset0:2 offset1:3
	ds_read2st64_b32 v[38:39], v32 offset0:4 offset1:5
	;; [unrolled: 1-line block ×3, first 2 shown]
	s_mov_b32 s7, 0x3f737871
	s_mov_b32 s6, 0x3f167918
	s_waitcnt vmcnt(2) lgkmcnt(3)
	v_mul_f32_e32 v0, v12, v44
	v_mul_f32_e32 v27, v9, v44
	v_fmac_f32_e32 v0, v9, v43
	v_mul_f32_e32 v9, v25, v46
	s_waitcnt lgkmcnt(2)
	v_mul_f32_e32 v28, v34, v46
	v_fma_f32 v12, v12, v43, -v27
	v_fma_f32 v27, v34, v45, -v9
	s_waitcnt vmcnt(1)
	v_mul_f32_e32 v9, v35, v48
	s_waitcnt lgkmcnt(1)
	v_mul_f32_e32 v30, v38, v50
	v_fmac_f32_e32 v28, v25, v45
	v_mul_f32_e32 v25, v26, v48
	v_fmac_f32_e32 v9, v26, v47
	;; [unrolled: 2-line block ×3, first 2 shown]
	s_waitcnt vmcnt(0)
	v_mul_f32_e32 v23, v24, v52
	v_mul_f32_e32 v58, v39, v52
	global_load_dwordx4 v[43:46], v57, s[8:9] offset:48
	v_fma_f32 v34, v39, v51, -v23
	v_mul_f32_e32 v23, v21, v54
	v_fma_f32 v25, v35, v47, -v25
	v_fmac_f32_e32 v58, v24, v51
	s_waitcnt lgkmcnt(0)
	v_fma_f32 v35, v55, v53, -v23
	global_load_dwordx2 v[23:24], v57, s[8:9] offset:64
	v_mul_f32_e32 v36, v55, v54
	v_fma_f32 v26, v38, v49, -v26
	v_fmac_f32_e32 v36, v21, v53
	ds_read2st64_b32 v[49:50], v32 offset0:8 offset1:9
	v_lshrrev_b32_e32 v21, 3, v41
	v_mul_u32_u24_e32 v21, 0x50, v21
	v_or_b32_e32 v21, v21, v40
	v_lshlrev_b32_e32 v21, 2, v21
	v_add3_u32 v38, 0, v21, v37
	v_sub_f32_e32 v53, v26, v35
	ds_read_b32 v51, v33
	s_waitcnt vmcnt(0) lgkmcnt(0)
	s_barrier
	v_mul_f32_e32 v37, v22, v44
	v_mul_f32_e32 v21, v56, v44
	;; [unrolled: 1-line block ×3, first 2 shown]
	v_fma_f32 v39, v56, v43, -v37
	v_fmac_f32_e32 v21, v22, v43
	v_fmac_f32_e32 v48, v19, v45
	v_mul_f32_e32 v37, v50, v24
	v_mul_f32_e32 v24, v20, v24
	v_fmac_f32_e32 v37, v20, v23
	v_mul_f32_e32 v22, v19, v46
	v_fma_f32 v40, v50, v23, -v24
	v_sub_f32_e32 v23, v28, v30
	v_sub_f32_e32 v24, v48, v36
	v_add_f32_e32 v43, v0, v9
	v_sub_f32_e32 v46, v9, v58
	v_sub_f32_e32 v47, v37, v21
	v_add_f32_e32 v23, v23, v24
	v_sub_f32_e32 v24, v25, v34
	v_add_f32_e32 v52, v46, v47
	;; [unrolled: 2-line block ×3, first 2 shown]
	v_add_f32_e32 v24, v24, v46
	v_add_f32_e32 v46, v47, v21
	v_add_f32_e32 v47, v34, v39
	v_fma_f32 v44, v49, v45, -v22
	v_add_f32_e32 v45, v58, v21
	v_fma_f32 v47, -0.5, v47, v12
	v_add_f32_e32 v20, v30, v36
	v_fma_f32 v43, -0.5, v45, v0
	v_sub_f32_e32 v56, v9, v37
	v_mov_b32_e32 v49, v47
	v_sub_f32_e32 v50, v25, v40
	v_fma_f32 v20, -0.5, v20, v29
	v_add_f32_e32 v55, v46, v37
	v_mov_b32_e32 v46, v43
	v_fmac_f32_e32 v49, 0x3f737871, v56
	v_sub_f32_e32 v57, v58, v21
	v_add_f32_e32 v19, v29, v28
	v_sub_f32_e32 v22, v27, v44
	v_mov_b32_e32 v45, v20
	v_fmac_f32_e32 v46, 0xbf737871, v50
	v_sub_f32_e32 v54, v34, v39
	v_fmac_f32_e32 v49, 0x3f167918, v57
	v_add_f32_e32 v19, v19, v30
	v_fmac_f32_e32 v45, 0xbf737871, v22
	v_fmac_f32_e32 v46, 0xbf167918, v54
	v_fmac_f32_e32 v49, 0x3e9e377a, v24
	v_add_f32_e32 v19, v19, v36
	v_fmac_f32_e32 v45, 0xbf167918, v53
	v_fmac_f32_e32 v46, 0x3e9e377a, v52
	v_mul_f32_e32 v59, 0xbf167918, v49
	v_add_f32_e32 v19, v19, v48
	v_fmac_f32_e32 v45, 0x3e9e377a, v23
	v_fmac_f32_e32 v59, 0x3f4f1bbd, v46
	v_add_f32_e32 v60, v19, v55
	v_add_f32_e32 v61, v45, v59
	ds_write2_b32 v38, v60, v61 offset1:8
	v_add_f32_e32 v60, v28, v48
	v_fmac_f32_e32 v29, -0.5, v60
	v_sub_f32_e32 v60, v30, v28
	v_sub_f32_e32 v61, v36, v48
	v_add_f32_e32 v60, v60, v61
	v_mov_b32_e32 v61, v29
	v_fmac_f32_e32 v29, 0xbf737871, v53
	v_fmac_f32_e32 v61, 0x3f737871, v53
	;; [unrolled: 1-line block ×6, first 2 shown]
	v_add_f32_e32 v22, v9, v37
	v_fmac_f32_e32 v43, 0x3f167918, v54
	v_fmac_f32_e32 v0, -0.5, v22
	v_fmac_f32_e32 v43, 0x3e9e377a, v52
	v_mov_b32_e32 v52, v0
	v_sub_f32_e32 v9, v58, v9
	v_sub_f32_e32 v21, v21, v37
	v_fmac_f32_e32 v52, 0x3f737871, v54
	v_fmac_f32_e32 v0, 0xbf737871, v54
	v_add_f32_e32 v9, v9, v21
	v_fmac_f32_e32 v52, 0xbf167918, v50
	v_fmac_f32_e32 v0, 0x3f167918, v50
	;; [unrolled: 1-line block ×4, first 2 shown]
	v_sub_f32_e32 v9, v34, v25
	v_sub_f32_e32 v21, v39, v40
	v_add_f32_e32 v9, v9, v21
	v_add_f32_e32 v21, v25, v40
	v_fmac_f32_e32 v20, 0x3f167918, v53
	v_fma_f32 v53, -0.5, v21, v12
	v_mov_b32_e32 v54, v53
	v_fmac_f32_e32 v47, 0xbf737871, v56
	v_fmac_f32_e32 v54, 0xbf737871, v57
	;; [unrolled: 1-line block ×10, first 2 shown]
	v_mul_f32_e32 v21, 0xbf737871, v54
	v_mul_f32_e32 v23, 0xbf167918, v47
	;; [unrolled: 1-line block ×3, first 2 shown]
	v_fmac_f32_e32 v29, 0x3e9e377a, v60
	v_fmac_f32_e32 v61, 0x3e9e377a, v60
	;; [unrolled: 1-line block ×5, first 2 shown]
	v_sub_f32_e32 v19, v19, v55
	v_sub_f32_e32 v22, v45, v59
	;; [unrolled: 1-line block ×3, first 2 shown]
	v_add_f32_e32 v20, v20, v23
	v_add_f32_e32 v23, v61, v21
	v_sub_f32_e32 v21, v61, v21
	v_add_f32_e32 v45, v29, v24
	v_sub_f32_e32 v37, v29, v24
	v_add_u32_e32 v29, 0x200, v32
	ds_write2_b32 v38, v23, v45 offset0:16 offset1:24
	ds_write2_b32 v38, v20, v19 offset0:32 offset1:40
	;; [unrolled: 1-line block ×4, first 2 shown]
	s_waitcnt lgkmcnt(0)
	s_barrier
	ds_read2_b32 v[19:20], v32 offset0:80 offset1:160
	v_add_u32_e32 v55, 0x400, v32
	ds_read_b32 v45, v33
	ds_read_b32 v50, v32 offset:2240
	ds_read2_b32 v[21:22], v29 offset0:112 offset1:192
	ds_read2_b32 v[23:24], v55 offset0:144 offset1:224
	s_and_saveexec_b64 s[4:5], vcc
	s_cbranch_execz .LBB0_21
; %bb.20:
	v_add_u32_e32 v1, 0x600, v32
	ds_read2_b32 v[9:10], v32 offset0:144 offset1:224
	ds_read2_b32 v[56:57], v55 offset0:48 offset1:128
	;; [unrolled: 1-line block ×3, first 2 shown]
	ds_read_b32 v37, v31
	ds_read_b32 v4, v32 offset:2496
	s_waitcnt lgkmcnt(3)
	v_mov_b32_e32 v11, v56
	v_mov_b32_e32 v1, v57
.LBB0_21:
	s_or_b64 exec, exec, s[4:5]
	v_add_f32_e32 v57, v26, v35
	v_fma_f32 v57, -0.5, v57, v51
	v_sub_f32_e32 v28, v28, v48
	v_mov_b32_e32 v48, v57
	v_fmac_f32_e32 v48, 0x3f737871, v28
	v_sub_f32_e32 v30, v30, v36
	v_sub_f32_e32 v36, v27, v26
	;; [unrolled: 1-line block ×3, first 2 shown]
	v_fmac_f32_e32 v57, 0xbf737871, v28
	v_fmac_f32_e32 v48, 0x3f167918, v30
	v_add_f32_e32 v36, v36, v58
	v_fmac_f32_e32 v57, 0xbf167918, v30
	v_fmac_f32_e32 v48, 0x3e9e377a, v36
	;; [unrolled: 1-line block ×3, first 2 shown]
	v_add_f32_e32 v36, v27, v44
	v_add_f32_e32 v56, v51, v27
	v_fmac_f32_e32 v51, -0.5, v36
	v_mov_b32_e32 v36, v51
	v_add_f32_e32 v56, v56, v26
	v_fmac_f32_e32 v36, 0xbf737871, v30
	v_sub_f32_e32 v26, v26, v27
	v_sub_f32_e32 v27, v35, v44
	v_fmac_f32_e32 v51, 0x3f737871, v30
	v_add_f32_e32 v12, v12, v25
	v_fmac_f32_e32 v36, 0x3f167918, v28
	v_add_f32_e32 v26, v26, v27
	;; [unrolled: 2-line block ×3, first 2 shown]
	v_add_f32_e32 v56, v56, v35
	v_fmac_f32_e32 v36, 0x3e9e377a, v26
	v_fmac_f32_e32 v51, 0x3e9e377a, v26
	v_add_f32_e32 v12, v12, v39
	v_mul_f32_e32 v26, 0x3f4f1bbd, v49
	v_mul_f32_e32 v28, 0x3e9e377a, v54
	;; [unrolled: 1-line block ×3, first 2 shown]
	v_add_f32_e32 v56, v56, v44
	v_add_f32_e32 v12, v12, v40
	v_fmac_f32_e32 v26, 0x3f167918, v46
	v_fmac_f32_e32 v28, 0x3f737871, v52
	v_fma_f32 v0, v0, s7, -v34
	v_mul_f32_e32 v34, 0x3f4f1bbd, v47
	v_add_f32_e32 v25, v56, v12
	v_add_f32_e32 v27, v48, v26
	;; [unrolled: 1-line block ×3, first 2 shown]
	v_fma_f32 v39, v43, s6, -v34
	v_sub_f32_e32 v26, v48, v26
	v_sub_f32_e32 v28, v36, v28
	v_add_f32_e32 v35, v51, v0
	v_add_f32_e32 v40, v57, v39
	v_sub_f32_e32 v43, v56, v12
	v_sub_f32_e32 v34, v51, v0
	;; [unrolled: 1-line block ×3, first 2 shown]
	s_waitcnt lgkmcnt(0)
	s_barrier
	ds_write2_b32 v38, v25, v27 offset1:8
	ds_write2_b32 v38, v30, v35 offset0:16 offset1:24
	ds_write2_b32 v38, v40, v43 offset0:32 offset1:40
	;; [unrolled: 1-line block ×4, first 2 shown]
	s_waitcnt lgkmcnt(0)
	s_barrier
	ds_read2_b32 v[25:26], v32 offset0:80 offset1:160
	ds_read2_b32 v[29:30], v29 offset0:112 offset1:192
	ds_read2_b32 v[27:28], v55 offset0:144 offset1:224
	ds_read_b32 v0, v33
	ds_read_b32 v33, v32 offset:2240
	s_and_saveexec_b64 s[4:5], vcc
	s_cbranch_execz .LBB0_23
; %bb.22:
	v_add_u32_e32 v5, 0x400, v32
	ds_read2_b32 v[35:36], v5 offset0:48 offset1:128
	v_add_u32_e32 v5, 0x600, v32
	ds_read2_b32 v[12:13], v32 offset0:144 offset1:224
	ds_read2_b32 v[6:7], v5 offset0:80 offset1:160
	ds_read_b32 v34, v31
	ds_read_b32 v8, v32 offset:2496
	s_waitcnt lgkmcnt(4)
	v_mov_b32_e32 v14, v35
	v_mov_b32_e32 v5, v36
.LBB0_23:
	s_or_b64 exec, exec, s[4:5]
	s_and_saveexec_b64 s[4:5], s[0:1]
	s_cbranch_execz .LBB0_26
; %bb.24:
	v_mul_u32_u24_e32 v31, 7, v41
	v_lshlrev_b32_e32 v35, 3, v31
	global_load_dwordx4 v[46:49], v35, s[8:9] offset:592
	global_load_dwordx4 v[51:54], v35, s[8:9] offset:576
	;; [unrolled: 1-line block ×3, first 2 shown]
	global_load_dwordx2 v[31:32], v35, s[8:9] offset:624
	v_mul_lo_u32 v35, s3, v17
	v_mul_lo_u32 v36, s2, v18
	v_mad_u64_u32 v[17:18], s[0:1], s2, v17, 0
	s_mov_b32 s0, 0xcccccccd
	v_mul_hi_u32 v38, v41, s0
	v_add3_u32 v18, v18, v36, v35
	s_movk_i32 s0, 0x50
	v_lshlrev_b64 v[17:18], 3, v[17:18]
	v_lshlrev_b64 v[15:16], 3, v[15:16]
	v_add_co_u32_e32 v17, vcc, s14, v17
	s_waitcnt vmcnt(3)
	v_mul_f32_e32 v35, v22, v49
	s_waitcnt vmcnt(2)
	v_mul_f32_e32 v36, v20, v53
	;; [unrolled: 2-line block ×3, first 2 shown]
	v_mul_f32_e32 v40, v19, v52
	v_mul_f32_e32 v43, v23, v56
	;; [unrolled: 1-line block ×3, first 2 shown]
	s_waitcnt vmcnt(0)
	v_mul_f32_e32 v59, v50, v31
	v_mul_f32_e32 v21, v21, v47
	v_mul_f32_e32 v50, v50, v32
	s_waitcnt lgkmcnt(4)
	v_mul_f32_e32 v52, v25, v52
	v_mul_f32_e32 v20, v20, v54
	;; [unrolled: 1-line block ×3, first 2 shown]
	s_waitcnt lgkmcnt(3)
	v_mul_f32_e32 v49, v30, v49
	s_waitcnt lgkmcnt(2)
	v_mul_f32_e32 v56, v27, v56
	v_fma_f32 v25, v25, v51, -v40
	v_fma_f32 v27, v27, v55, -v43
	v_fmac_f32_e32 v44, v29, v47
	v_fma_f32 v21, v29, v46, -v21
	s_waitcnt lgkmcnt(0)
	v_fma_f32 v29, v33, v31, -v50
	v_fmac_f32_e32 v52, v19, v51
	v_fma_f32 v19, v26, v53, -v20
	v_fma_f32 v20, v28, v57, -v24
	v_fmac_f32_e32 v49, v22, v48
	v_fma_f32 v30, v30, v48, -v35
	v_fmac_f32_e32 v36, v26, v54
	v_fmac_f32_e32 v39, v28, v58
	;; [unrolled: 1-line block ×4, first 2 shown]
	v_sub_f32_e32 v24, v25, v27
	v_sub_f32_e32 v27, v21, v29
	v_sub_f32_e32 v20, v19, v20
	v_sub_f32_e32 v29, v45, v49
	v_sub_f32_e32 v22, v0, v30
	v_sub_f32_e32 v23, v36, v39
	v_sub_f32_e32 v26, v44, v59
	v_sub_f32_e32 v28, v52, v56
	v_add_f32_e32 v33, v29, v20
	v_sub_f32_e32 v30, v22, v23
	v_sub_f32_e32 v31, v24, v26
	v_add_f32_e32 v32, v28, v27
	v_fma_f32 v0, v0, 2.0, -v22
	v_fma_f32 v35, v19, 2.0, -v20
	;; [unrolled: 1-line block ×4, first 2 shown]
	v_mov_b32_e32 v19, v33
	v_fma_f32 v40, v45, 2.0, -v29
	v_fma_f32 v23, v36, 2.0, -v23
	;; [unrolled: 1-line block ×4, first 2 shown]
	v_mov_b32_e32 v20, v30
	v_sub_f32_e32 v27, v0, v35
	v_sub_f32_e32 v35, v39, v26
	v_fma_f32 v36, v22, 2.0, -v30
	v_fmac_f32_e32 v19, 0x3f3504f3, v32
	v_sub_f32_e32 v43, v40, v23
	v_sub_f32_e32 v26, v25, v21
	v_fma_f32 v44, v24, 2.0, -v31
	v_fmac_f32_e32 v20, 0x3f3504f3, v31
	v_sub_f32_e32 v22, v27, v35
	v_mov_b32_e32 v24, v36
	v_fmac_f32_e32 v19, 0x3f3504f3, v31
	v_lshrrev_b32_e32 v31, 6, v38
	v_fma_f32 v45, v28, 2.0, -v32
	v_fma_f32 v29, v29, 2.0, -v33
	v_add_f32_e32 v21, v43, v26
	v_fma_f32 v0, v0, 2.0, -v27
	v_fma_f32 v46, v25, 2.0, -v26
	;; [unrolled: 1-line block ×3, first 2 shown]
	v_fmac_f32_e32 v24, 0xbf3504f3, v44
	v_fma_f32 v27, v33, 2.0, -v19
	v_mul_lo_u32 v33, v31, s0
	v_fmac_f32_e32 v20, 0xbf3504f3, v32
	v_fmac_f32_e32 v24, 0xbf3504f3, v45
	v_sub_f32_e32 v32, v0, v46
	v_fma_f32 v28, v30, 2.0, -v20
	v_fma_f32 v30, v36, 2.0, -v24
	;; [unrolled: 1-line block ×5, first 2 shown]
	v_sub_f32_e32 v31, v0, v31
	v_fma_f32 v35, v0, 2.0, -v31
	v_sub_u32_e32 v0, v41, v33
	v_mov_b32_e32 v33, s15
	v_addc_co_u32_e32 v18, vcc, v33, v18, vcc
	v_add_co_u32_e32 v15, vcc, v17, v15
	v_mov_b32_e32 v23, v29
	v_addc_co_u32_e32 v16, vcc, v18, v16, vcc
	v_lshlrev_b32_e32 v0, 3, v0
	v_fmac_f32_e32 v23, 0xbf3504f3, v45
	v_add_co_u32_e32 v17, vcc, v15, v0
	v_fmac_f32_e32 v23, 0x3f3504f3, v44
	v_addc_co_u32_e32 v18, vcc, 0, v16, vcc
	v_fma_f32 v25, v43, 2.0, -v21
	v_fma_f32 v29, v29, 2.0, -v23
	global_store_dwordx2 v[17:18], v[35:36], off
	global_store_dwordx2 v[17:18], v[29:30], off offset:640
	global_store_dwordx2 v[17:18], v[25:26], off offset:1280
	;; [unrolled: 1-line block ×6, first 2 shown]
	v_add_co_u32_e32 v17, vcc, 0x1000, v17
	v_addc_co_u32_e32 v18, vcc, 0, v18, vcc
	v_add_u32_e32 v0, 64, v41
	v_cmp_gt_u32_e32 vcc, s0, v0
	global_store_dwordx2 v[17:18], v[19:20], off offset:384
	s_and_b64 exec, exec, vcc
	s_cbranch_execz .LBB0_26
; %bb.25:
	v_add_u32_e32 v17, -16, v41
	v_cmp_gt_u32_e32 vcc, s0, v42
	v_cndmask_b32_e32 v17, v17, v42, vcc
	v_mul_i32_i24_e32 v28, 7, v17
	v_mov_b32_e32 v29, 0
	v_lshlrev_b64 v[17:18], 3, v[28:29]
	v_mov_b32_e32 v19, s9
	v_add_co_u32_e32 v30, vcc, s8, v17
	v_addc_co_u32_e32 v31, vcc, v19, v18, vcc
	global_load_dwordx4 v[17:20], v[30:31], off offset:576
	global_load_dwordx4 v[21:24], v[30:31], off offset:592
	;; [unrolled: 1-line block ×3, first 2 shown]
	global_load_dwordx2 v[32:33], v[30:31], off offset:624
	s_waitcnt vmcnt(3)
	v_mul_f32_e32 v31, v13, v20
	s_waitcnt vmcnt(2)
	v_mul_f32_e32 v36, v5, v24
	v_mul_f32_e32 v24, v1, v24
	s_waitcnt vmcnt(1)
	v_mul_f32_e32 v39, v7, v28
	v_mul_f32_e32 v30, v12, v18
	;; [unrolled: 1-line block ×8, first 2 shown]
	s_waitcnt vmcnt(0)
	v_mul_f32_e32 v40, v8, v33
	v_fmac_f32_e32 v31, v10, v19
	v_fmac_f32_e32 v36, v1, v23
	v_fma_f32 v1, v5, v23, -v24
	v_fmac_f32_e32 v39, v3, v27
	v_mul_f32_e32 v22, v11, v22
	v_mul_f32_e32 v33, v4, v33
	v_fmac_f32_e32 v30, v9, v17
	v_fma_f32 v9, v12, v17, -v18
	v_fma_f32 v10, v13, v19, -v20
	v_fmac_f32_e32 v35, v11, v21
	v_fmac_f32_e32 v38, v2, v25
	v_fma_f32 v2, v6, v25, -v26
	v_fma_f32 v3, v7, v27, -v28
	v_fmac_f32_e32 v40, v4, v32
	v_sub_f32_e32 v1, v34, v1
	v_sub_f32_e32 v6, v31, v39
	v_fma_f32 v11, v14, v21, -v22
	v_fma_f32 v4, v8, v32, -v33
	v_sub_f32_e32 v5, v37, v36
	v_sub_f32_e32 v3, v10, v3
	;; [unrolled: 1-line block ×7, first 2 shown]
	v_fma_f32 v13, v34, 2.0, -v1
	v_add_f32_e32 v19, v5, v3
	v_sub_f32_e32 v22, v2, v8
	v_fma_f32 v1, v1, 2.0, -v20
	v_fma_f32 v12, v37, 2.0, -v5
	;; [unrolled: 1-line block ×4, first 2 shown]
	v_add_f32_e32 v21, v7, v4
	v_fma_f32 v24, v5, 2.0, -v19
	v_fma_f32 v25, v2, 2.0, -v22
	v_mov_b32_e32 v5, v1
	v_sub_f32_e32 v8, v17, v18
	v_fma_f32 v18, v7, 2.0, -v21
	v_fmac_f32_e32 v5, 0xbf3504f3, v25
	v_fma_f32 v11, v11, 2.0, -v4
	v_mov_b32_e32 v4, v24
	v_fmac_f32_e32 v5, 0xbf3504f3, v18
	v_fma_f32 v14, v31, 2.0, -v6
	v_fma_f32 v10, v10, 2.0, -v3
	;; [unrolled: 1-line block ×3, first 2 shown]
	v_fmac_f32_e32 v4, 0xbf3504f3, v18
	v_fma_f32 v18, v1, 2.0, -v5
	v_mov_b32_e32 v1, v29
	v_sub_f32_e32 v14, v12, v14
	v_sub_f32_e32 v23, v13, v10
	;; [unrolled: 1-line block ×3, first 2 shown]
	v_lshlrev_b64 v[0:1], 3, v[0:1]
	v_fma_f32 v12, v12, 2.0, -v14
	v_fma_f32 v13, v13, 2.0, -v23
	;; [unrolled: 1-line block ×4, first 2 shown]
	v_sub_f32_e32 v7, v23, v8
	v_sub_f32_e32 v8, v12, v10
	;; [unrolled: 1-line block ×3, first 2 shown]
	v_add_co_u32_e32 v0, vcc, v15, v0
	v_fma_f32 v12, v12, 2.0, -v8
	v_fma_f32 v13, v13, 2.0, -v9
	v_addc_co_u32_e32 v1, vcc, v16, v1, vcc
	v_add_u32_e32 v28, 0x90, v41
	global_store_dwordx2 v[0:1], v[12:13], off
	v_lshlrev_b64 v[0:1], 3, v[28:29]
	v_fmac_f32_e32 v4, 0x3f3504f3, v25
	v_add_co_u32_e32 v0, vcc, v15, v0
	v_fma_f32 v17, v24, 2.0, -v4
	v_addc_co_u32_e32 v1, vcc, v16, v1, vcc
	v_add_u32_e32 v28, 0xe0, v41
	global_store_dwordx2 v[0:1], v[17:18], off
	v_lshlrev_b64 v[0:1], 3, v[28:29]
	v_add_f32_e32 v6, v14, v6
	v_add_co_u32_e32 v0, vcc, v15, v0
	v_fma_f32 v10, v14, 2.0, -v6
	v_fma_f32 v11, v23, 2.0, -v7
	v_addc_co_u32_e32 v1, vcc, v16, v1, vcc
	v_add_u32_e32 v28, 0x130, v41
	v_mov_b32_e32 v2, v19
	v_mov_b32_e32 v3, v20
	global_store_dwordx2 v[0:1], v[10:11], off
	v_lshlrev_b64 v[0:1], 3, v[28:29]
	v_fmac_f32_e32 v2, 0x3f3504f3, v21
	v_fmac_f32_e32 v3, 0x3f3504f3, v22
	v_fmac_f32_e32 v2, 0x3f3504f3, v22
	v_fmac_f32_e32 v3, 0xbf3504f3, v21
	v_add_co_u32_e32 v0, vcc, v15, v0
	v_fma_f32 v19, v19, 2.0, -v2
	v_fma_f32 v20, v20, 2.0, -v3
	v_addc_co_u32_e32 v1, vcc, v16, v1, vcc
	v_add_u32_e32 v28, 0x180, v41
	global_store_dwordx2 v[0:1], v[19:20], off
	v_lshlrev_b64 v[0:1], 3, v[28:29]
	v_add_u32_e32 v28, 0x1d0, v41
	v_add_co_u32_e32 v0, vcc, v15, v0
	v_addc_co_u32_e32 v1, vcc, v16, v1, vcc
	global_store_dwordx2 v[0:1], v[8:9], off
	v_lshlrev_b64 v[0:1], 3, v[28:29]
	v_add_u32_e32 v28, 0x220, v41
	v_add_co_u32_e32 v0, vcc, v15, v0
	v_addc_co_u32_e32 v1, vcc, v16, v1, vcc
	global_store_dwordx2 v[0:1], v[4:5], off
	v_lshlrev_b64 v[0:1], 3, v[28:29]
	v_add_u32_e32 v28, 0x270, v41
	v_add_co_u32_e32 v0, vcc, v15, v0
	v_addc_co_u32_e32 v1, vcc, v16, v1, vcc
	global_store_dwordx2 v[0:1], v[6:7], off
	v_lshlrev_b64 v[0:1], 3, v[28:29]
	v_add_co_u32_e32 v0, vcc, v15, v0
	v_addc_co_u32_e32 v1, vcc, v16, v1, vcc
	global_store_dwordx2 v[0:1], v[2:3], off
.LBB0_26:
	s_endpgm
	.section	.rodata,"a",@progbits
	.p2align	6, 0x0
	.amdhsa_kernel fft_rtc_back_len640_factors_8_10_8_wgs_128_tpt_64_halfLds_sp_op_CI_CI_unitstride_sbrr_dirReg
		.amdhsa_group_segment_fixed_size 0
		.amdhsa_private_segment_fixed_size 0
		.amdhsa_kernarg_size 104
		.amdhsa_user_sgpr_count 6
		.amdhsa_user_sgpr_private_segment_buffer 1
		.amdhsa_user_sgpr_dispatch_ptr 0
		.amdhsa_user_sgpr_queue_ptr 0
		.amdhsa_user_sgpr_kernarg_segment_ptr 1
		.amdhsa_user_sgpr_dispatch_id 0
		.amdhsa_user_sgpr_flat_scratch_init 0
		.amdhsa_user_sgpr_private_segment_size 0
		.amdhsa_uses_dynamic_stack 0
		.amdhsa_system_sgpr_private_segment_wavefront_offset 0
		.amdhsa_system_sgpr_workgroup_id_x 1
		.amdhsa_system_sgpr_workgroup_id_y 0
		.amdhsa_system_sgpr_workgroup_id_z 0
		.amdhsa_system_sgpr_workgroup_info 0
		.amdhsa_system_vgpr_workitem_id 0
		.amdhsa_next_free_vgpr 62
		.amdhsa_next_free_sgpr 28
		.amdhsa_reserve_vcc 1
		.amdhsa_reserve_flat_scratch 0
		.amdhsa_float_round_mode_32 0
		.amdhsa_float_round_mode_16_64 0
		.amdhsa_float_denorm_mode_32 3
		.amdhsa_float_denorm_mode_16_64 3
		.amdhsa_dx10_clamp 1
		.amdhsa_ieee_mode 1
		.amdhsa_fp16_overflow 0
		.amdhsa_exception_fp_ieee_invalid_op 0
		.amdhsa_exception_fp_denorm_src 0
		.amdhsa_exception_fp_ieee_div_zero 0
		.amdhsa_exception_fp_ieee_overflow 0
		.amdhsa_exception_fp_ieee_underflow 0
		.amdhsa_exception_fp_ieee_inexact 0
		.amdhsa_exception_int_div_zero 0
	.end_amdhsa_kernel
	.text
.Lfunc_end0:
	.size	fft_rtc_back_len640_factors_8_10_8_wgs_128_tpt_64_halfLds_sp_op_CI_CI_unitstride_sbrr_dirReg, .Lfunc_end0-fft_rtc_back_len640_factors_8_10_8_wgs_128_tpt_64_halfLds_sp_op_CI_CI_unitstride_sbrr_dirReg
                                        ; -- End function
	.section	.AMDGPU.csdata,"",@progbits
; Kernel info:
; codeLenInByte = 5728
; NumSgprs: 32
; NumVgprs: 62
; ScratchSize: 0
; MemoryBound: 0
; FloatMode: 240
; IeeeMode: 1
; LDSByteSize: 0 bytes/workgroup (compile time only)
; SGPRBlocks: 3
; VGPRBlocks: 15
; NumSGPRsForWavesPerEU: 32
; NumVGPRsForWavesPerEU: 62
; Occupancy: 4
; WaveLimiterHint : 1
; COMPUTE_PGM_RSRC2:SCRATCH_EN: 0
; COMPUTE_PGM_RSRC2:USER_SGPR: 6
; COMPUTE_PGM_RSRC2:TRAP_HANDLER: 0
; COMPUTE_PGM_RSRC2:TGID_X_EN: 1
; COMPUTE_PGM_RSRC2:TGID_Y_EN: 0
; COMPUTE_PGM_RSRC2:TGID_Z_EN: 0
; COMPUTE_PGM_RSRC2:TIDIG_COMP_CNT: 0
	.type	__hip_cuid_958f422702b14027,@object ; @__hip_cuid_958f422702b14027
	.section	.bss,"aw",@nobits
	.globl	__hip_cuid_958f422702b14027
__hip_cuid_958f422702b14027:
	.byte	0                               ; 0x0
	.size	__hip_cuid_958f422702b14027, 1

	.ident	"AMD clang version 19.0.0git (https://github.com/RadeonOpenCompute/llvm-project roc-6.4.0 25133 c7fe45cf4b819c5991fe208aaa96edf142730f1d)"
	.section	".note.GNU-stack","",@progbits
	.addrsig
	.addrsig_sym __hip_cuid_958f422702b14027
	.amdgpu_metadata
---
amdhsa.kernels:
  - .args:
      - .actual_access:  read_only
        .address_space:  global
        .offset:         0
        .size:           8
        .value_kind:     global_buffer
      - .offset:         8
        .size:           8
        .value_kind:     by_value
      - .actual_access:  read_only
        .address_space:  global
        .offset:         16
        .size:           8
        .value_kind:     global_buffer
      - .actual_access:  read_only
        .address_space:  global
        .offset:         24
        .size:           8
        .value_kind:     global_buffer
      - .actual_access:  read_only
        .address_space:  global
        .offset:         32
        .size:           8
        .value_kind:     global_buffer
      - .offset:         40
        .size:           8
        .value_kind:     by_value
      - .actual_access:  read_only
        .address_space:  global
        .offset:         48
        .size:           8
        .value_kind:     global_buffer
      - .actual_access:  read_only
        .address_space:  global
        .offset:         56
        .size:           8
        .value_kind:     global_buffer
      - .offset:         64
        .size:           4
        .value_kind:     by_value
      - .actual_access:  read_only
        .address_space:  global
        .offset:         72
        .size:           8
        .value_kind:     global_buffer
      - .actual_access:  read_only
        .address_space:  global
        .offset:         80
        .size:           8
        .value_kind:     global_buffer
      - .actual_access:  read_only
        .address_space:  global
        .offset:         88
        .size:           8
        .value_kind:     global_buffer
      - .actual_access:  write_only
        .address_space:  global
        .offset:         96
        .size:           8
        .value_kind:     global_buffer
    .group_segment_fixed_size: 0
    .kernarg_segment_align: 8
    .kernarg_segment_size: 104
    .language:       OpenCL C
    .language_version:
      - 2
      - 0
    .max_flat_workgroup_size: 128
    .name:           fft_rtc_back_len640_factors_8_10_8_wgs_128_tpt_64_halfLds_sp_op_CI_CI_unitstride_sbrr_dirReg
    .private_segment_fixed_size: 0
    .sgpr_count:     32
    .sgpr_spill_count: 0
    .symbol:         fft_rtc_back_len640_factors_8_10_8_wgs_128_tpt_64_halfLds_sp_op_CI_CI_unitstride_sbrr_dirReg.kd
    .uniform_work_group_size: 1
    .uses_dynamic_stack: false
    .vgpr_count:     62
    .vgpr_spill_count: 0
    .wavefront_size: 64
amdhsa.target:   amdgcn-amd-amdhsa--gfx906
amdhsa.version:
  - 1
  - 2
...

	.end_amdgpu_metadata
